;; amdgpu-corpus repo=ROCm/rocFFT kind=compiled arch=gfx950 opt=O3
	.text
	.amdgcn_target "amdgcn-amd-amdhsa--gfx950"
	.amdhsa_code_object_version 6
	.protected	fft_rtc_back_len125_factors_5_5_5_wgs_400_tpt_25_dp_ip_CI_sbcc_twdbase8_2step_dirReg ; -- Begin function fft_rtc_back_len125_factors_5_5_5_wgs_400_tpt_25_dp_ip_CI_sbcc_twdbase8_2step_dirReg
	.globl	fft_rtc_back_len125_factors_5_5_5_wgs_400_tpt_25_dp_ip_CI_sbcc_twdbase8_2step_dirReg
	.p2align	8
	.type	fft_rtc_back_len125_factors_5_5_5_wgs_400_tpt_25_dp_ip_CI_sbcc_twdbase8_2step_dirReg,@function
fft_rtc_back_len125_factors_5_5_5_wgs_400_tpt_25_dp_ip_CI_sbcc_twdbase8_2step_dirReg: ; @fft_rtc_back_len125_factors_5_5_5_wgs_400_tpt_25_dp_ip_CI_sbcc_twdbase8_2step_dirReg
; %bb.0:
	s_load_dwordx4 s[4:7], s[0:1], 0x18
	s_mov_b32 s3, 0
	s_mov_b64 s[24:25], 0
	s_waitcnt lgkmcnt(0)
	s_load_dwordx2 s[18:19], s[4:5], 0x8
	s_waitcnt lgkmcnt(0)
	s_add_u32 s8, s18, -1
	s_addc_u32 s9, s19, -1
	s_lshr_b64 s[8:9], s[8:9], 4
	s_add_u32 s20, s8, 1
	s_addc_u32 s21, s9, 0
	v_mov_b64_e32 v[2:3], s[20:21]
	v_cmp_lt_u64_e32 vcc, s[2:3], v[2:3]
	s_cbranch_vccnz .LBB0_2
; %bb.1:
	v_cvt_f32_u32_e32 v1, s20
	s_sub_i32 s8, 0, s20
	s_mov_b32 s25, s3
	v_rcp_iflag_f32_e32 v1, v1
	s_nop 0
	v_mul_f32_e32 v1, 0x4f7ffffe, v1
	v_cvt_u32_f32_e32 v1, v1
	s_nop 0
	v_readfirstlane_b32 s9, v1
	s_mul_i32 s8, s8, s9
	s_mul_hi_u32 s8, s9, s8
	s_add_i32 s9, s9, s8
	s_mul_hi_u32 s8, s2, s9
	s_mul_i32 s10, s8, s20
	s_sub_i32 s10, s2, s10
	s_add_i32 s9, s8, 1
	s_sub_i32 s11, s10, s20
	s_cmp_ge_u32 s10, s20
	s_cselect_b32 s8, s9, s8
	s_cselect_b32 s10, s11, s10
	s_add_i32 s9, s8, 1
	s_cmp_ge_u32 s10, s20
	s_cselect_b32 s24, s9, s8
.LBB0_2:
	s_mul_i32 s22, s24, s21
	s_mul_hi_u32 s23, s24, s20
	s_add_i32 s23, s23, s22
	s_mul_i32 s22, s24, s20
	s_load_dwordx4 s[8:11], s[6:7], 0x0
	s_load_dwordx2 s[16:17], s[0:1], 0x0
	s_load_dwordx4 s[12:15], s[0:1], 0x8
	s_sub_u32 s26, s2, s22
	s_subb_u32 s27, 0, s23
	v_mov_b32_e32 v1, s26
	s_lshl_b64 s[22:23], s[26:27], 4
	v_alignbit_b32 v1, s27, v1, 28
	s_waitcnt lgkmcnt(0)
	v_mul_lo_u32 v1, s10, v1
	s_mul_hi_u32 s26, s10, s22
	v_add_u32_e32 v1, s26, v1
	s_mul_i32 s26, s11, s22
	v_add_u32_e32 v3, s26, v1
	s_mul_i32 s26, s10, s22
	v_mov_b32_e32 v2, s26
	v_cmp_lt_u64_e64 s[26:27], s[14:15], 3
	s_and_b64 vcc, exec, s[26:27]
	s_cbranch_vccnz .LBB0_11
; %bb.3:
	s_add_u32 s26, s6, 16
	s_addc_u32 s27, s7, 0
	s_add_u32 s28, s4, 16
	s_addc_u32 s29, s5, 0
	s_mov_b64 s[30:31], 2
	s_mov_b32 s34, 0
	v_mov_b64_e32 v[4:5], s[14:15]
	s_branch .LBB0_5
.LBB0_4:                                ;   in Loop: Header=BB0_5 Depth=1
	s_mul_i32 s21, s36, s21
	s_mul_hi_u32 s33, s36, s20
	s_add_i32 s21, s33, s21
	s_mul_i32 s33, s37, s20
	s_add_i32 s21, s21, s33
	s_mul_i32 s33, s4, s37
	s_mul_hi_u32 s35, s4, s36
	s_load_dwordx2 s[38:39], s[26:27], 0x0
	s_add_i32 s33, s35, s33
	s_mul_i32 s35, s5, s36
	s_add_i32 s33, s33, s35
	s_mul_i32 s35, s4, s36
	s_sub_u32 s24, s24, s35
	s_subb_u32 s25, s25, s33
	s_waitcnt lgkmcnt(0)
	s_mul_i32 s25, s38, s25
	s_mul_hi_u32 s33, s38, s24
	s_add_i32 s25, s33, s25
	s_mul_i32 s33, s39, s24
	s_add_i32 s25, s25, s33
	s_add_u32 s30, s30, 1
	s_addc_u32 s31, s31, 0
	s_add_u32 s26, s26, 8
	s_addc_u32 s27, s27, 0
	s_mul_i32 s24, s38, s24
	s_add_u32 s28, s28, 8
	v_cmp_ge_u64_e32 vcc, s[30:31], v[4:5]
	s_mul_i32 s20, s36, s20
	v_lshl_add_u64 v[2:3], s[24:25], 0, v[2:3]
	s_addc_u32 s29, s29, 0
	s_mov_b64 s[24:25], s[4:5]
	s_cbranch_vccnz .LBB0_9
.LBB0_5:                                ; =>This Inner Loop Header: Depth=1
	s_load_dwordx2 s[36:37], s[28:29], 0x0
	s_waitcnt lgkmcnt(0)
	s_or_b64 s[4:5], s[24:25], s[36:37]
	s_mov_b32 s35, s5
	s_cmp_lg_u64 s[34:35], 0
	s_cbranch_scc0 .LBB0_7
; %bb.6:                                ;   in Loop: Header=BB0_5 Depth=1
	v_cvt_f32_u32_e32 v1, s36
	v_cvt_f32_u32_e32 v6, s37
	s_sub_u32 s4, 0, s36
	s_subb_u32 s5, 0, s37
	v_fmac_f32_e32 v1, 0x4f800000, v6
	v_rcp_f32_e32 v1, v1
	s_nop 0
	v_mul_f32_e32 v1, 0x5f7ffffc, v1
	v_mul_f32_e32 v6, 0x2f800000, v1
	v_trunc_f32_e32 v6, v6
	v_fmac_f32_e32 v1, 0xcf800000, v6
	v_cvt_u32_f32_e32 v6, v6
	v_cvt_u32_f32_e32 v1, v1
	v_readfirstlane_b32 s33, v6
	v_readfirstlane_b32 s35, v1
	s_mul_i32 s38, s4, s33
	s_mul_hi_u32 s40, s4, s35
	s_mul_i32 s39, s5, s35
	s_add_i32 s38, s40, s38
	s_mul_i32 s41, s4, s35
	s_add_i32 s38, s38, s39
	s_mul_hi_u32 s39, s35, s38
	s_mul_i32 s40, s35, s38
	s_mul_hi_u32 s35, s35, s41
	s_add_u32 s35, s35, s40
	s_addc_u32 s39, 0, s39
	s_mul_hi_u32 s42, s33, s41
	s_mul_i32 s41, s33, s41
	s_add_u32 s35, s35, s41
	s_mul_hi_u32 s40, s33, s38
	s_addc_u32 s35, s39, s42
	s_addc_u32 s39, s40, 0
	s_mul_i32 s38, s33, s38
	s_add_u32 s35, s35, s38
	s_addc_u32 s38, 0, s39
	v_add_co_u32_e32 v1, vcc, s35, v1
	s_cmp_lg_u64 vcc, 0
	s_addc_u32 s33, s33, s38
	v_readfirstlane_b32 s38, v1
	s_mul_i32 s35, s4, s33
	s_mul_hi_u32 s39, s4, s38
	s_add_i32 s35, s39, s35
	s_mul_i32 s5, s5, s38
	s_add_i32 s35, s35, s5
	s_mul_i32 s4, s4, s38
	s_mul_hi_u32 s39, s33, s4
	s_mul_i32 s40, s33, s4
	s_mul_i32 s42, s38, s35
	s_mul_hi_u32 s4, s38, s4
	s_mul_hi_u32 s41, s38, s35
	s_add_u32 s4, s4, s42
	s_addc_u32 s38, 0, s41
	s_add_u32 s4, s4, s40
	s_mul_hi_u32 s5, s33, s35
	s_addc_u32 s4, s38, s39
	s_addc_u32 s5, s5, 0
	s_mul_i32 s35, s33, s35
	s_add_u32 s4, s4, s35
	s_addc_u32 s5, 0, s5
	v_add_co_u32_e32 v1, vcc, s4, v1
	s_cmp_lg_u64 vcc, 0
	s_addc_u32 s4, s33, s5
	v_readfirstlane_b32 s35, v1
	s_mul_i32 s33, s24, s4
	s_mul_hi_u32 s38, s24, s35
	s_mul_hi_u32 s5, s24, s4
	s_add_u32 s33, s38, s33
	s_addc_u32 s5, 0, s5
	s_mul_hi_u32 s39, s25, s35
	s_mul_i32 s35, s25, s35
	s_add_u32 s33, s33, s35
	s_mul_hi_u32 s38, s25, s4
	s_addc_u32 s5, s5, s39
	s_addc_u32 s33, s38, 0
	s_mul_i32 s4, s25, s4
	s_add_u32 s35, s5, s4
	s_addc_u32 s33, 0, s33
	s_mul_i32 s4, s36, s33
	s_mul_hi_u32 s5, s36, s35
	s_add_i32 s4, s5, s4
	s_mul_i32 s5, s37, s35
	s_add_i32 s38, s4, s5
	s_mul_i32 s5, s36, s35
	v_mov_b32_e32 v1, s5
	s_sub_i32 s4, s25, s38
	v_sub_co_u32_e32 v1, vcc, s24, v1
	s_cmp_lg_u64 vcc, 0
	s_subb_u32 s39, s4, s37
	v_subrev_co_u32_e64 v6, s[4:5], s36, v1
	s_cmp_lg_u64 s[4:5], 0
	s_subb_u32 s4, s39, 0
	s_cmp_ge_u32 s4, s37
	v_readfirstlane_b32 s39, v6
	s_cselect_b32 s5, -1, 0
	s_cmp_ge_u32 s39, s36
	s_cselect_b32 s39, -1, 0
	s_cmp_eq_u32 s4, s37
	s_cselect_b32 s4, s39, s5
	s_add_u32 s5, s35, 1
	s_addc_u32 s39, s33, 0
	s_add_u32 s40, s35, 2
	s_addc_u32 s41, s33, 0
	s_cmp_lg_u32 s4, 0
	s_cselect_b32 s4, s40, s5
	s_cselect_b32 s5, s41, s39
	s_cmp_lg_u64 vcc, 0
	s_subb_u32 s38, s25, s38
	s_cmp_ge_u32 s38, s37
	v_readfirstlane_b32 s40, v1
	s_cselect_b32 s39, -1, 0
	s_cmp_ge_u32 s40, s36
	s_cselect_b32 s40, -1, 0
	s_cmp_eq_u32 s38, s37
	s_cselect_b32 s38, s40, s39
	s_cmp_lg_u32 s38, 0
	s_cselect_b32 s5, s5, s33
	s_cselect_b32 s4, s4, s35
	s_cbranch_execnz .LBB0_4
	s_branch .LBB0_8
.LBB0_7:                                ;   in Loop: Header=BB0_5 Depth=1
                                        ; implicit-def: $sgpr4_sgpr5
.LBB0_8:                                ;   in Loop: Header=BB0_5 Depth=1
	v_cvt_f32_u32_e32 v1, s36
	s_sub_i32 s4, 0, s36
	v_rcp_iflag_f32_e32 v1, v1
	s_nop 0
	v_mul_f32_e32 v1, 0x4f7ffffe, v1
	v_cvt_u32_f32_e32 v1, v1
	s_nop 0
	v_readfirstlane_b32 s5, v1
	s_mul_i32 s4, s4, s5
	s_mul_hi_u32 s4, s5, s4
	s_add_i32 s5, s5, s4
	s_mul_hi_u32 s4, s24, s5
	s_mul_i32 s33, s4, s36
	s_sub_i32 s33, s24, s33
	s_add_i32 s5, s4, 1
	s_sub_i32 s35, s33, s36
	s_cmp_ge_u32 s33, s36
	s_cselect_b32 s4, s5, s4
	s_cselect_b32 s33, s35, s33
	s_add_i32 s5, s4, 1
	s_cmp_ge_u32 s33, s36
	s_cselect_b32 s4, s5, s4
	s_mov_b32 s5, s34
	s_branch .LBB0_4
.LBB0_9:
	v_mov_b64_e32 v[4:5], s[20:21]
	v_cmp_lt_u64_e32 vcc, s[2:3], v[4:5]
	s_mov_b64 s[24:25], 0
	s_cbranch_vccnz .LBB0_11
; %bb.10:
	v_cvt_f32_u32_e32 v1, s20
	s_sub_i32 s3, 0, s20
	v_rcp_iflag_f32_e32 v1, v1
	s_nop 0
	v_mul_f32_e32 v1, 0x4f7ffffe, v1
	v_cvt_u32_f32_e32 v1, v1
	s_nop 0
	v_readfirstlane_b32 s4, v1
	s_mul_i32 s3, s3, s4
	s_mul_hi_u32 s3, s4, s3
	s_add_i32 s4, s4, s3
	s_mul_hi_u32 s3, s2, s4
	s_mul_i32 s5, s3, s20
	s_sub_i32 s2, s2, s5
	s_add_i32 s4, s3, 1
	s_sub_i32 s5, s2, s20
	s_cmp_ge_u32 s2, s20
	s_cselect_b32 s3, s4, s3
	s_cselect_b32 s2, s5, s2
	s_add_i32 s4, s3, 1
	s_cmp_ge_u32 s2, s20
	s_cselect_b32 s24, s4, s3
.LBB0_11:
	s_load_dwordx2 s[2:3], s[0:1], 0x58
	s_lshl_b64 s[0:1], s[14:15], 3
	s_add_u32 s0, s6, s0
	s_addc_u32 s1, s7, s1
	s_load_dwordx2 s[0:1], s[0:1], 0x0
	v_and_b32_e32 v1, 15, v0
	v_or_b32_e32 v24, s22, v1
	v_mov_b32_e32 v25, s23
	v_mov_b64_e32 v[4:5], s[18:19]
	s_waitcnt lgkmcnt(0)
	s_mul_i32 s1, s1, s24
	s_mul_hi_u32 s4, s0, s24
	s_mul_i32 s0, s0, s24
	s_add_i32 s1, s4, s1
	v_lshl_add_u64 v[2:3], s[0:1], 0, v[2:3]
	s_add_u32 s0, s22, 16
	s_addc_u32 s1, s23, 0
	v_cmp_le_u64_e32 vcc, s[0:1], v[4:5]
	v_cmp_gt_u64_e64 s[0:1], s[18:19], v[24:25]
	v_lshrrev_b32_e32 v26, 4, v0
	s_or_b64 s[20:21], vcc, s[0:1]
	v_lshlrev_b64 v[22:23], 4, v[2:3]
                                        ; implicit-def: $vgpr20_vgpr21
                                        ; implicit-def: $vgpr12_vgpr13
                                        ; implicit-def: $vgpr16_vgpr17
                                        ; implicit-def: $vgpr8_vgpr9
                                        ; implicit-def: $vgpr4_vgpr5
	s_and_saveexec_b64 s[0:1], s[20:21]
	s_cbranch_execz .LBB0_13
; %bb.12:
	v_mad_u64_u32 v[2:3], s[4:5], s10, v1, 0
	v_mov_b32_e32 v4, v3
	v_mad_u64_u32 v[4:5], s[4:5], s11, v1, v[4:5]
	v_mov_b32_e32 v3, v4
	v_mad_u64_u32 v[4:5], s[4:5], s8, v26, 0
	v_mov_b32_e32 v6, v5
	v_mad_u64_u32 v[6:7], s[4:5], s9, v26, v[6:7]
	v_mov_b32_e32 v5, v6
	v_lshl_add_u64 v[6:7], s[2:3], 0, v[22:23]
	v_lshl_add_u64 v[18:19], v[2:3], 4, v[6:7]
	v_lshl_add_u64 v[10:11], v[4:5], 4, v[18:19]
	v_add_u32_e32 v5, 25, v26
	v_mad_u64_u32 v[2:3], s[4:5], s8, v5, 0
	v_mov_b32_e32 v4, v3
	v_mad_u64_u32 v[4:5], s[4:5], s9, v5, v[4:5]
	v_mov_b32_e32 v3, v4
	v_lshl_add_u64 v[12:13], v[2:3], 4, v[18:19]
	global_load_dwordx4 v[2:5], v[10:11], off
	global_load_dwordx4 v[6:9], v[12:13], off
	v_add_u32_e32 v13, 50, v26
	v_mad_u64_u32 v[10:11], s[4:5], s8, v13, 0
	v_mov_b32_e32 v12, v11
	v_mad_u64_u32 v[12:13], s[4:5], s9, v13, v[12:13]
	v_mov_b32_e32 v11, v12
	v_add_u32_e32 v13, 0x4b, v26
	v_lshl_add_u64 v[20:21], v[10:11], 4, v[18:19]
	v_mad_u64_u32 v[10:11], s[4:5], s8, v13, 0
	v_mov_b32_e32 v12, v11
	v_mad_u64_u32 v[12:13], s[4:5], s9, v13, v[12:13]
	v_mov_b32_e32 v11, v12
	v_add_u32_e32 v25, 0x64, v26
	v_lshl_add_u64 v[28:29], v[10:11], 4, v[18:19]
	global_load_dwordx4 v[14:17], v[20:21], off
	global_load_dwordx4 v[10:13], v[28:29], off
	v_mad_u64_u32 v[20:21], s[4:5], s8, v25, 0
	v_mov_b32_e32 v28, v21
	v_mad_u64_u32 v[28:29], s[4:5], s9, v25, v[28:29]
	v_mov_b32_e32 v21, v28
	v_lshl_add_u64 v[18:19], v[20:21], 4, v[18:19]
	global_load_dwordx4 v[18:21], v[18:19], off
.LBB0_13:
	s_or_b64 exec, exec, s[0:1]
	s_waitcnt vmcnt(1)
	v_add_f64 v[30:31], v[10:11], v[14:15]
	s_mov_b32 s0, 0x134454ff
	v_fma_f64 v[32:33], -0.5, v[30:31], v[2:3]
	s_waitcnt vmcnt(0)
	v_add_f64 v[30:31], v[8:9], -v[20:21]
	s_mov_b32 s1, 0xbfee6f0e
	s_mov_b32 s4, 0x4755a5e
	s_mov_b32 s19, 0x3fee6f0e
	s_mov_b32 s18, s0
	v_fma_f64 v[36:37], s[0:1], v[30:31], v[32:33]
	v_add_f64 v[34:35], v[16:17], -v[12:13]
	s_mov_b32 s5, 0xbfe2cf23
	v_add_f64 v[38:39], v[6:7], -v[14:15]
	v_add_f64 v[40:41], v[18:19], -v[10:11]
	s_mov_b32 s6, 0x372fe950
	v_fmac_f64_e32 v[32:33], s[18:19], v[30:31]
	s_mov_b32 s15, 0x3fe2cf23
	s_mov_b32 s14, s4
	v_fmac_f64_e32 v[36:37], s[4:5], v[34:35]
	v_add_f64 v[38:39], v[40:41], v[38:39]
	s_mov_b32 s7, 0x3fd3c6ef
	v_fmac_f64_e32 v[32:33], s[14:15], v[34:35]
	v_fmac_f64_e32 v[36:37], s[6:7], v[38:39]
	;; [unrolled: 1-line block ×3, first 2 shown]
	v_add_f64 v[38:39], v[18:19], v[6:7]
	v_add_f64 v[28:29], v[6:7], v[2:3]
	v_fmac_f64_e32 v[2:3], -0.5, v[38:39]
	v_add_f64 v[28:29], v[14:15], v[28:29]
	v_fma_f64 v[40:41], s[18:19], v[34:35], v[2:3]
	v_add_f64 v[38:39], v[14:15], -v[6:7]
	v_add_f64 v[42:43], v[10:11], -v[18:19]
	v_fmac_f64_e32 v[2:3], s[0:1], v[34:35]
	v_add_f64 v[34:35], v[12:13], v[16:17]
	v_add_f64 v[28:29], v[10:11], v[28:29]
	v_fmac_f64_e32 v[40:41], s[4:5], v[30:31]
	v_add_f64 v[38:39], v[42:43], v[38:39]
	v_fmac_f64_e32 v[2:3], s[14:15], v[30:31]
	v_fma_f64 v[34:35], -0.5, v[34:35], v[4:5]
	v_add_f64 v[6:7], v[6:7], -v[18:19]
	v_add_f64 v[28:29], v[18:19], v[28:29]
	v_fmac_f64_e32 v[40:41], s[6:7], v[38:39]
	v_fmac_f64_e32 v[2:3], s[6:7], v[38:39]
	v_fma_f64 v[38:39], s[18:19], v[6:7], v[34:35]
	v_add_f64 v[10:11], v[14:15], -v[10:11]
	v_add_f64 v[14:15], v[8:9], -v[16:17]
	;; [unrolled: 1-line block ×3, first 2 shown]
	v_fmac_f64_e32 v[34:35], s[0:1], v[6:7]
	v_fmac_f64_e32 v[38:39], s[14:15], v[10:11]
	v_add_f64 v[14:15], v[18:19], v[14:15]
	v_fmac_f64_e32 v[34:35], s[4:5], v[10:11]
	v_fmac_f64_e32 v[38:39], s[6:7], v[14:15]
	;; [unrolled: 1-line block ×3, first 2 shown]
	v_add_f64 v[14:15], v[20:21], v[8:9]
	v_add_f64 v[30:31], v[8:9], v[4:5]
	v_fmac_f64_e32 v[4:5], -0.5, v[14:15]
	v_add_f64 v[30:31], v[16:17], v[30:31]
	v_fma_f64 v[42:43], s[0:1], v[10:11], v[4:5]
	v_fmac_f64_e32 v[4:5], s[18:19], v[10:11]
	v_add_f64 v[30:31], v[12:13], v[30:31]
	v_fmac_f64_e32 v[42:43], s[14:15], v[6:7]
	v_add_f64 v[8:9], v[16:17], -v[8:9]
	v_add_f64 v[12:13], v[12:13], -v[20:21]
	v_fmac_f64_e32 v[4:5], s[4:5], v[6:7]
	v_mul_u32_u24_e32 v6, 0x500, v26
	v_lshlrev_b32_e32 v14, 4, v1
	v_add_f64 v[30:31], v[20:21], v[30:31]
	v_add_f64 v[8:9], v[12:13], v[8:9]
	v_add3_u32 v15, 0, v6, v14
	s_movk_i32 s22, 0xcd
	v_fmac_f64_e32 v[42:43], s[6:7], v[8:9]
	v_fmac_f64_e32 v[4:5], s[6:7], v[8:9]
	ds_write_b128 v15, v[28:31]
	ds_write_b128 v15, v[36:39] offset:256
	ds_write_b128 v15, v[40:43] offset:512
	;; [unrolled: 1-line block ×4, first 2 shown]
	v_mul_lo_u16_sdwa v2, v26, s22 dst_sel:DWORD dst_unused:UNUSED_PAD src0_sel:BYTE_0 src1_sel:DWORD
	v_lshrrev_b16_e32 v25, 10, v2
	v_mul_lo_u16_e32 v2, 5, v25
	v_sub_u16_e32 v2, v26, v2
	v_and_b32_e32 v27, 0xff, v2
	v_lshlrev_b32_e32 v20, 6, v27
	s_waitcnt lgkmcnt(0)
	s_barrier
	global_load_dwordx4 v[2:5], v20, s[16:17]
	global_load_dwordx4 v[6:9], v20, s[16:17] offset:16
	global_load_dwordx4 v[10:13], v20, s[16:17] offset:32
	;; [unrolled: 1-line block ×3, first 2 shown]
	v_lshlrev_b32_e32 v20, 10, v26
	v_sub_u32_e32 v15, v15, v20
	ds_read_b128 v[28:31], v15 offset:6400
	ds_read_b128 v[32:35], v15
	ds_read_b128 v[36:39], v15 offset:12800
	ds_read_b128 v[40:43], v15 offset:19200
	;; [unrolled: 1-line block ×3, first 2 shown]
	s_waitcnt lgkmcnt(0)
	s_barrier
	s_waitcnt vmcnt(3)
	v_mul_f64 v[20:21], v[30:31], v[4:5]
	v_mul_f64 v[4:5], v[28:29], v[4:5]
	v_fmac_f64_e32 v[20:21], v[28:29], v[2:3]
	v_fma_f64 v[28:29], v[30:31], v[2:3], -v[4:5]
	s_waitcnt vmcnt(2)
	v_mul_f64 v[30:31], v[38:39], v[8:9]
	v_mul_f64 v[2:3], v[36:37], v[8:9]
	v_fmac_f64_e32 v[30:31], v[36:37], v[6:7]
	v_fma_f64 v[36:37], v[38:39], v[6:7], -v[2:3]
	;; [unrolled: 5-line block ×3, first 2 shown]
	s_waitcnt vmcnt(0)
	v_mul_f64 v[2:3], v[44:45], v[18:19]
	v_mul_f64 v[12:13], v[46:47], v[18:19]
	v_fma_f64 v[42:43], v[46:47], v[16:17], -v[2:3]
	v_add_f64 v[4:5], v[30:31], v[38:39]
	v_fmac_f64_e32 v[12:13], v[44:45], v[16:17]
	v_fma_f64 v[6:7], -0.5, v[4:5], v[32:33]
	v_add_f64 v[4:5], v[28:29], -v[42:43]
	v_fma_f64 v[10:11], s[0:1], v[4:5], v[6:7]
	v_add_f64 v[8:9], v[36:37], -v[40:41]
	v_add_f64 v[16:17], v[20:21], -v[30:31]
	v_add_f64 v[18:19], v[12:13], -v[38:39]
	v_fmac_f64_e32 v[6:7], s[18:19], v[4:5]
	v_fmac_f64_e32 v[10:11], s[4:5], v[8:9]
	v_add_f64 v[16:17], v[16:17], v[18:19]
	v_fmac_f64_e32 v[6:7], s[14:15], v[8:9]
	v_fmac_f64_e32 v[10:11], s[6:7], v[16:17]
	;; [unrolled: 1-line block ×3, first 2 shown]
	v_add_f64 v[16:17], v[20:21], v[12:13]
	v_add_f64 v[2:3], v[32:33], v[20:21]
	v_fmac_f64_e32 v[32:33], -0.5, v[16:17]
	v_add_f64 v[2:3], v[2:3], v[30:31]
	v_fma_f64 v[16:17], s[18:19], v[8:9], v[32:33]
	v_add_f64 v[18:19], v[30:31], -v[20:21]
	v_add_f64 v[44:45], v[38:39], -v[12:13]
	v_fmac_f64_e32 v[32:33], s[0:1], v[8:9]
	v_add_f64 v[8:9], v[36:37], v[40:41]
	v_add_f64 v[2:3], v[2:3], v[38:39]
	v_fmac_f64_e32 v[16:17], s[4:5], v[4:5]
	v_add_f64 v[18:19], v[18:19], v[44:45]
	v_fmac_f64_e32 v[32:33], s[14:15], v[4:5]
	v_fma_f64 v[8:9], -0.5, v[8:9], v[34:35]
	v_add_f64 v[20:21], v[20:21], -v[12:13]
	v_add_f64 v[2:3], v[2:3], v[12:13]
	v_fmac_f64_e32 v[16:17], s[6:7], v[18:19]
	v_fmac_f64_e32 v[32:33], s[6:7], v[18:19]
	v_fma_f64 v[12:13], s[18:19], v[20:21], v[8:9]
	v_add_f64 v[30:31], v[30:31], -v[38:39]
	v_add_f64 v[18:19], v[28:29], -v[36:37]
	;; [unrolled: 1-line block ×3, first 2 shown]
	v_fmac_f64_e32 v[8:9], s[0:1], v[20:21]
	v_fmac_f64_e32 v[12:13], s[14:15], v[30:31]
	v_add_f64 v[18:19], v[18:19], v[38:39]
	v_fmac_f64_e32 v[8:9], s[4:5], v[30:31]
	v_fmac_f64_e32 v[12:13], s[6:7], v[18:19]
	;; [unrolled: 1-line block ×3, first 2 shown]
	v_add_f64 v[18:19], v[28:29], v[42:43]
	v_add_f64 v[4:5], v[34:35], v[28:29]
	v_fmac_f64_e32 v[34:35], -0.5, v[18:19]
	v_fma_f64 v[18:19], s[0:1], v[30:31], v[34:35]
	v_fmac_f64_e32 v[34:35], s[18:19], v[30:31]
	v_add_f64 v[4:5], v[4:5], v[36:37]
	v_fmac_f64_e32 v[18:19], s[14:15], v[20:21]
	v_fmac_f64_e32 v[34:35], s[4:5], v[20:21]
	v_mul_u32_u24_e32 v20, 25, v25
	v_add_f64 v[4:5], v[4:5], v[40:41]
	v_add_f64 v[28:29], v[36:37], -v[28:29]
	v_add_f64 v[36:37], v[40:41], -v[42:43]
	v_add_lshl_u32 v20, v20, v27, 8
	v_add_f64 v[4:5], v[4:5], v[42:43]
	v_add_f64 v[28:29], v[28:29], v[36:37]
	v_add3_u32 v14, 0, v20, v14
	v_fmac_f64_e32 v[18:19], s[6:7], v[28:29]
	v_fmac_f64_e32 v[34:35], s[6:7], v[28:29]
	ds_write_b128 v14, v[2:5]
	ds_write_b128 v14, v[10:13] offset:1280
	ds_write_b128 v14, v[16:19] offset:2560
	;; [unrolled: 1-line block ×4, first 2 shown]
	s_waitcnt lgkmcnt(0)
	s_barrier
	s_and_saveexec_b64 s[22:23], s[20:21]
	s_cbranch_execz .LBB0_15
; %bb.14:
	v_mov_b32_e32 v2, 41
	v_mul_lo_u16_sdwa v2, v26, v2 dst_sel:DWORD dst_unused:UNUSED_PAD src0_sel:BYTE_0 src1_sel:DWORD
	v_lshrrev_b16_e32 v2, 10, v2
	v_mul_lo_u16_e32 v2, 25, v2
	v_sub_u16_e32 v2, v26, v2
	v_and_b32_e32 v14, 0xff, v2
	v_lshlrev_b32_e32 v16, 6, v14
	global_load_dwordx4 v[10:13], v16, s[16:17] offset:320
	global_load_dwordx4 v[6:9], v16, s[16:17] offset:368
	;; [unrolled: 1-line block ×3, first 2 shown]
	v_add_u32_e32 v20, 0x64, v14
	v_mov_b32_e32 v25, 4
	v_mul_lo_u32 v20, v24, v20
	v_mov_b32_e32 v70, 0x1000
	v_lshlrev_b32_sdwa v34, v25, v20 dst_sel:DWORD dst_unused:UNUSED_PAD src0_sel:DWORD src1_sel:BYTE_0
	v_bfe_u32 v20, v20, 8, 8
	v_add_u32_e32 v21, 0x4b, v14
	v_lshl_or_b32 v20, v20, 4, v70
	global_load_dwordx4 v[16:19], v16, s[16:17] offset:352
	s_nop 0
	global_load_dwordx4 v[26:29], v34, s[12:13]
	global_load_dwordx4 v[30:33], v20, s[12:13]
	v_mul_lo_u32 v20, v24, v21
	v_lshlrev_b32_sdwa v21, v25, v20 dst_sel:DWORD dst_unused:UNUSED_PAD src0_sel:DWORD src1_sel:BYTE_0
	v_bfe_u32 v20, v20, 8, 8
	v_add_u32_e32 v42, 50, v14
	v_lshl_or_b32 v20, v20, 4, v70
	global_load_dwordx4 v[34:37], v21, s[12:13]
	global_load_dwordx4 v[38:41], v20, s[12:13]
	v_mul_lo_u32 v20, v24, v42
	v_lshlrev_b32_sdwa v21, v25, v20 dst_sel:DWORD dst_unused:UNUSED_PAD src0_sel:DWORD src1_sel:BYTE_0
	v_bfe_u32 v20, v20, 8, 8
	v_lshl_or_b32 v20, v20, 4, v70
	global_load_dwordx4 v[42:45], v21, s[12:13]
	global_load_dwordx4 v[46:49], v20, s[12:13]
	ds_read_b128 v[50:53], v15 offset:6400
	v_lshrrev_b16_e32 v0, 4, v0
	v_mul_u32_u24_e32 v0, 0xa3e, v0
	s_waitcnt vmcnt(9) lgkmcnt(0)
	v_mul_f64 v[20:21], v[50:51], v[12:13]
	v_mul_f64 v[54:55], v[52:53], v[12:13]
	v_fma_f64 v[20:21], v[52:53], v[10:11], -v[20:21]
	v_fmac_f64_e32 v[54:55], v[50:51], v[10:11]
	ds_read_b128 v[10:13], v15 offset:25600
	s_waitcnt vmcnt(8) lgkmcnt(0)
	v_mul_f64 v[50:51], v[10:11], v[8:9]
	v_mul_f64 v[52:53], v[12:13], v[8:9]
	v_fma_f64 v[50:51], v[12:13], v[6:7], -v[50:51]
	v_fmac_f64_e32 v[52:53], v[10:11], v[6:7]
	ds_read_b128 v[6:9], v15 offset:12800
	s_waitcnt vmcnt(4)
	v_mul_f64 v[12:13], v[26:27], v[32:33]
	v_fmac_f64_e32 v[12:13], v[28:29], v[30:31]
	s_waitcnt lgkmcnt(0)
	v_mul_f64 v[10:11], v[6:7], v[4:5]
	v_mul_f64 v[56:57], v[8:9], v[4:5]
	v_fma_f64 v[58:59], v[8:9], v[2:3], -v[10:11]
	v_fmac_f64_e32 v[56:57], v[6:7], v[2:3]
	ds_read_b128 v[2:5], v15 offset:19200
	ds_read_b128 v[6:9], v15
	v_add_u32_e32 v15, 25, v14
	v_mul_lo_u32 v15, v24, v15
	v_mul_lo_u32 v24, v24, v14
	s_waitcnt lgkmcnt(1)
	v_mul_f64 v[10:11], v[2:3], v[18:19]
	v_mul_f64 v[60:61], v[4:5], v[18:19]
	v_fma_f64 v[62:63], v[4:5], v[16:17], -v[10:11]
	v_fmac_f64_e32 v[60:61], v[2:3], v[16:17]
	v_mul_f64 v[10:11], v[28:29], v[32:33]
	s_waitcnt vmcnt(2)
	v_mul_f64 v[28:29], v[34:35], v[40:41]
	v_add_f64 v[16:17], v[58:59], v[62:63]
	v_mul_f64 v[18:19], v[36:37], v[40:41]
	v_fmac_f64_e32 v[28:29], v[36:37], v[38:39]
	s_waitcnt vmcnt(0)
	v_mul_f64 v[36:37], v[42:43], v[48:49]
	v_add_f64 v[40:41], v[56:57], v[60:61]
	v_add_f64 v[2:3], v[20:21], -v[58:59]
	v_add_f64 v[4:5], v[50:51], -v[62:63]
	v_fma_f64 v[10:11], v[26:27], v[30:31], -v[10:11]
	v_add_f64 v[26:27], v[54:55], -v[52:53]
	v_mul_f64 v[32:33], v[44:45], v[48:49]
	v_fmac_f64_e32 v[36:37], v[44:45], v[46:47]
	v_add_f64 v[44:45], v[20:21], -v[50:51]
	s_waitcnt lgkmcnt(0)
	v_fma_f64 v[48:49], -0.5, v[16:17], v[8:9]
	v_fma_f64 v[66:67], -0.5, v[40:41], v[6:7]
	v_fma_f64 v[18:19], v[34:35], v[38:39], -v[18:19]
	v_add_f64 v[34:35], v[56:57], -v[60:61]
	v_add_f64 v[30:31], v[54:55], -v[56:57]
	v_fma_f64 v[32:33], v[42:43], v[46:47], -v[32:33]
	v_add_f64 v[38:39], v[52:53], -v[60:61]
	v_add_f64 v[42:43], v[58:59], -v[62:63]
	v_add_f64 v[46:47], v[2:3], v[4:5]
	v_fma_f64 v[4:5], s[0:1], v[26:27], v[48:49]
	v_fma_f64 v[16:17], s[18:19], v[44:45], v[66:67]
	v_add_f64 v[64:65], v[30:31], v[38:39]
	v_fmac_f64_e32 v[4:5], s[4:5], v[34:35]
	v_fmac_f64_e32 v[16:17], s[14:15], v[42:43]
	;; [unrolled: 1-line block ×4, first 2 shown]
	v_mul_f64 v[30:31], v[16:17], v[12:13]
	v_mul_f64 v[2:3], v[4:5], v[12:13]
	v_fma_f64 v[4:5], v[4:5], v[10:11], -v[30:31]
	v_fmac_f64_e32 v[2:3], v[16:17], v[10:11]
	v_add_f64 v[10:11], v[58:59], -v[20:21]
	v_add_f64 v[12:13], v[62:63], -v[50:51]
	v_add_f64 v[16:17], v[10:11], v[12:13]
	v_add_f64 v[10:11], v[56:57], -v[54:55]
	v_add_f64 v[12:13], v[60:61], -v[52:53]
	v_add_f64 v[30:31], v[10:11], v[12:13]
	v_add_f64 v[12:13], v[54:55], v[52:53]
	;; [unrolled: 1-line block ×3, first 2 shown]
	v_fma_f64 v[40:41], -0.5, v[12:13], v[6:7]
	v_fma_f64 v[38:39], -0.5, v[10:11], v[8:9]
	v_fma_f64 v[68:69], s[0:1], v[42:43], v[40:41]
	v_fma_f64 v[10:11], s[18:19], v[34:35], v[38:39]
	v_fmac_f64_e32 v[68:69], s[14:15], v[44:45]
	v_fmac_f64_e32 v[40:41], s[18:19], v[42:43]
	;; [unrolled: 1-line block ×7, first 2 shown]
	v_mul_f64 v[12:13], v[68:69], v[28:29]
	v_fmac_f64_e32 v[38:39], s[14:15], v[26:27]
	v_fmac_f64_e32 v[40:41], s[6:7], v[30:31]
	v_fma_f64 v[12:13], v[10:11], v[18:19], -v[12:13]
	v_mul_f64 v[10:11], v[10:11], v[28:29]
	v_fmac_f64_e32 v[38:39], s[6:7], v[16:17]
	v_mul_f64 v[16:17], v[40:41], v[36:37]
	v_lshlrev_b32_sdwa v28, v25, v15 dst_sel:DWORD dst_unused:UNUSED_PAD src0_sel:DWORD src1_sel:BYTE_0
	v_bfe_u32 v15, v15, 8, 8
	v_fmac_f64_e32 v[10:11], v[68:69], v[18:19]
	v_fma_f64 v[18:19], v[38:39], v[32:33], -v[16:17]
	v_mul_f64 v[16:17], v[38:39], v[36:37]
	v_lshl_or_b32 v15, v15, 4, v70
	v_fmac_f64_e32 v[16:17], v[40:41], v[32:33]
	v_fmac_f64_e32 v[48:49], s[18:19], v[26:27]
	global_load_dwordx4 v[26:29], v28, s[12:13]
	v_lshlrev_b32_sdwa v25, v25, v24 dst_sel:DWORD dst_unused:UNUSED_PAD src0_sel:DWORD src1_sel:BYTE_0
	v_bfe_u32 v24, v24, 8, 8
	global_load_dwordx4 v[30:33], v15, s[12:13]
	v_lshl_or_b32 v24, v24, 4, v70
	global_load_dwordx4 v[38:41], v24, s[12:13]
	v_fmac_f64_e32 v[48:49], s[14:15], v[34:35]
	global_load_dwordx4 v[34:37], v25, s[12:13]
	v_add_f64 v[6:7], v[6:7], v[54:55]
	v_fmac_f64_e32 v[66:67], s[0:1], v[44:45]
	v_add_f64 v[8:9], v[8:9], v[20:21]
	v_add_f64 v[6:7], v[6:7], v[56:57]
	v_fmac_f64_e32 v[66:67], s[4:5], v[42:43]
	v_add_f64 v[8:9], v[8:9], v[58:59]
	v_add_f64 v[6:7], v[6:7], v[60:61]
	;; [unrolled: 1-line block ×4, first 2 shown]
	v_fmac_f64_e32 v[48:49], s[6:7], v[46:47]
	v_fmac_f64_e32 v[66:67], s[6:7], v[64:65]
	s_waitcnt vmcnt(2)
	v_mul_f64 v[24:25], v[28:29], v[32:33]
	v_fma_f64 v[42:43], v[26:27], v[30:31], -v[24:25]
	v_mul_f64 v[24:25], v[26:27], v[32:33]
	v_fmac_f64_e32 v[24:25], v[28:29], v[30:31]
	v_add_f64 v[30:31], v[6:7], v[52:53]
	s_waitcnt vmcnt(0)
	v_mul_f64 v[6:7], v[34:35], v[40:41]
	v_mul_f64 v[8:9], v[36:37], v[40:41]
	v_fmac_f64_e32 v[6:7], v[36:37], v[38:39]
	v_fma_f64 v[28:29], v[34:35], v[38:39], -v[8:9]
	v_mul_f64 v[8:9], v[30:31], v[6:7]
	v_fma_f64 v[8:9], v[20:21], v[28:29], -v[8:9]
	v_mul_f64 v[6:7], v[20:21], v[6:7]
	v_mad_u64_u32 v[20:21], s[0:1], s10, v1, 0
	v_fmac_f64_e32 v[6:7], v[30:31], v[28:29]
	v_mov_b32_e32 v28, v21
	v_mad_u64_u32 v[28:29], s[0:1], s11, v1, v[28:29]
	s_movk_i32 s0, 0x7d
	s_nop 0
	v_mul_lo_u16_sdwa v0, v0, s0 dst_sel:DWORD dst_unused:UNUSED_PAD src0_sel:WORD_1 src1_sel:DWORD
	v_mov_b32_e32 v21, v28
	v_add_u32_e32 v28, v0, v14
	v_mad_u64_u32 v[0:1], s[0:1], s8, v28, 0
	v_mov_b32_e32 v14, v1
	v_mad_u64_u32 v[14:15], s[0:1], s9, v28, v[14:15]
	v_mov_b32_e32 v1, v14
	v_lshl_add_u64 v[14:15], s[2:3], 0, v[22:23]
	v_lshl_add_u64 v[14:15], v[20:21], 4, v[14:15]
	;; [unrolled: 1-line block ×3, first 2 shown]
	global_store_dwordx4 v[0:1], v[6:9], off
	v_mul_f64 v[26:27], v[66:67], v[24:25]
	v_mul_f64 v[24:25], v[48:49], v[24:25]
	v_add_u32_e32 v7, 25, v28
	v_mad_u64_u32 v[0:1], s[0:1], s8, v7, 0
	v_mov_b32_e32 v6, v1
	v_mad_u64_u32 v[6:7], s[0:1], s9, v7, v[6:7]
	v_mov_b32_e32 v1, v6
	v_fma_f64 v[26:27], v[48:49], v[42:43], -v[26:27]
	v_fmac_f64_e32 v[24:25], v[66:67], v[42:43]
	v_lshl_add_u64 v[0:1], v[0:1], 4, v[14:15]
	v_add_u32_e32 v7, 50, v28
	global_store_dwordx4 v[0:1], v[24:27], off
	v_mad_u64_u32 v[0:1], s[0:1], s8, v7, 0
	v_mov_b32_e32 v6, v1
	v_mad_u64_u32 v[6:7], s[0:1], s9, v7, v[6:7]
	v_mov_b32_e32 v1, v6
	v_lshl_add_u64 v[0:1], v[0:1], 4, v[14:15]
	v_add_u32_e32 v7, 0x4b, v28
	global_store_dwordx4 v[0:1], v[16:19], off
	v_mad_u64_u32 v[0:1], s[0:1], s8, v7, 0
	v_mov_b32_e32 v6, v1
	v_mad_u64_u32 v[6:7], s[0:1], s9, v7, v[6:7]
	v_mov_b32_e32 v1, v6
	;; [unrolled: 7-line block ×3, first 2 shown]
	v_lshl_add_u64 v[0:1], v[0:1], 4, v[14:15]
	global_store_dwordx4 v[0:1], v[2:5], off
.LBB0_15:
	s_endpgm
	.section	.rodata,"a",@progbits
	.p2align	6, 0x0
	.amdhsa_kernel fft_rtc_back_len125_factors_5_5_5_wgs_400_tpt_25_dp_ip_CI_sbcc_twdbase8_2step_dirReg
		.amdhsa_group_segment_fixed_size 0
		.amdhsa_private_segment_fixed_size 0
		.amdhsa_kernarg_size 96
		.amdhsa_user_sgpr_count 2
		.amdhsa_user_sgpr_dispatch_ptr 0
		.amdhsa_user_sgpr_queue_ptr 0
		.amdhsa_user_sgpr_kernarg_segment_ptr 1
		.amdhsa_user_sgpr_dispatch_id 0
		.amdhsa_user_sgpr_kernarg_preload_length 0
		.amdhsa_user_sgpr_kernarg_preload_offset 0
		.amdhsa_user_sgpr_private_segment_size 0
		.amdhsa_uses_dynamic_stack 0
		.amdhsa_enable_private_segment 0
		.amdhsa_system_sgpr_workgroup_id_x 1
		.amdhsa_system_sgpr_workgroup_id_y 0
		.amdhsa_system_sgpr_workgroup_id_z 0
		.amdhsa_system_sgpr_workgroup_info 0
		.amdhsa_system_vgpr_workitem_id 0
		.amdhsa_next_free_vgpr 71
		.amdhsa_next_free_sgpr 43
		.amdhsa_accum_offset 72
		.amdhsa_reserve_vcc 1
		.amdhsa_float_round_mode_32 0
		.amdhsa_float_round_mode_16_64 0
		.amdhsa_float_denorm_mode_32 3
		.amdhsa_float_denorm_mode_16_64 3
		.amdhsa_dx10_clamp 1
		.amdhsa_ieee_mode 1
		.amdhsa_fp16_overflow 0
		.amdhsa_tg_split 0
		.amdhsa_exception_fp_ieee_invalid_op 0
		.amdhsa_exception_fp_denorm_src 0
		.amdhsa_exception_fp_ieee_div_zero 0
		.amdhsa_exception_fp_ieee_overflow 0
		.amdhsa_exception_fp_ieee_underflow 0
		.amdhsa_exception_fp_ieee_inexact 0
		.amdhsa_exception_int_div_zero 0
	.end_amdhsa_kernel
	.text
.Lfunc_end0:
	.size	fft_rtc_back_len125_factors_5_5_5_wgs_400_tpt_25_dp_ip_CI_sbcc_twdbase8_2step_dirReg, .Lfunc_end0-fft_rtc_back_len125_factors_5_5_5_wgs_400_tpt_25_dp_ip_CI_sbcc_twdbase8_2step_dirReg
                                        ; -- End function
	.section	.AMDGPU.csdata,"",@progbits
; Kernel info:
; codeLenInByte = 4244
; NumSgprs: 49
; NumVgprs: 71
; NumAgprs: 0
; TotalNumVgprs: 71
; ScratchSize: 0
; MemoryBound: 1
; FloatMode: 240
; IeeeMode: 1
; LDSByteSize: 0 bytes/workgroup (compile time only)
; SGPRBlocks: 6
; VGPRBlocks: 8
; NumSGPRsForWavesPerEU: 49
; NumVGPRsForWavesPerEU: 71
; AccumOffset: 72
; Occupancy: 7
; WaveLimiterHint : 1
; COMPUTE_PGM_RSRC2:SCRATCH_EN: 0
; COMPUTE_PGM_RSRC2:USER_SGPR: 2
; COMPUTE_PGM_RSRC2:TRAP_HANDLER: 0
; COMPUTE_PGM_RSRC2:TGID_X_EN: 1
; COMPUTE_PGM_RSRC2:TGID_Y_EN: 0
; COMPUTE_PGM_RSRC2:TGID_Z_EN: 0
; COMPUTE_PGM_RSRC2:TIDIG_COMP_CNT: 0
; COMPUTE_PGM_RSRC3_GFX90A:ACCUM_OFFSET: 17
; COMPUTE_PGM_RSRC3_GFX90A:TG_SPLIT: 0
	.text
	.p2alignl 6, 3212836864
	.fill 256, 4, 3212836864
	.type	__hip_cuid_c44255c87223d5c0,@object ; @__hip_cuid_c44255c87223d5c0
	.section	.bss,"aw",@nobits
	.globl	__hip_cuid_c44255c87223d5c0
__hip_cuid_c44255c87223d5c0:
	.byte	0                               ; 0x0
	.size	__hip_cuid_c44255c87223d5c0, 1

	.ident	"AMD clang version 19.0.0git (https://github.com/RadeonOpenCompute/llvm-project roc-6.4.0 25133 c7fe45cf4b819c5991fe208aaa96edf142730f1d)"
	.section	".note.GNU-stack","",@progbits
	.addrsig
	.addrsig_sym __hip_cuid_c44255c87223d5c0
	.amdgpu_metadata
---
amdhsa.kernels:
  - .agpr_count:     0
    .args:
      - .actual_access:  read_only
        .address_space:  global
        .offset:         0
        .size:           8
        .value_kind:     global_buffer
      - .address_space:  global
        .offset:         8
        .size:           8
        .value_kind:     global_buffer
      - .offset:         16
        .size:           8
        .value_kind:     by_value
      - .actual_access:  read_only
        .address_space:  global
        .offset:         24
        .size:           8
        .value_kind:     global_buffer
      - .actual_access:  read_only
        .address_space:  global
        .offset:         32
        .size:           8
        .value_kind:     global_buffer
      - .offset:         40
        .size:           8
        .value_kind:     by_value
      - .actual_access:  read_only
        .address_space:  global
        .offset:         48
        .size:           8
        .value_kind:     global_buffer
      - .actual_access:  read_only
        .address_space:  global
        .offset:         56
        .size:           8
        .value_kind:     global_buffer
      - .offset:         64
        .size:           4
        .value_kind:     by_value
      - .actual_access:  read_only
        .address_space:  global
        .offset:         72
        .size:           8
        .value_kind:     global_buffer
      - .actual_access:  read_only
        .address_space:  global
        .offset:         80
        .size:           8
        .value_kind:     global_buffer
      - .address_space:  global
        .offset:         88
        .size:           8
        .value_kind:     global_buffer
    .group_segment_fixed_size: 0
    .kernarg_segment_align: 8
    .kernarg_segment_size: 96
    .language:       OpenCL C
    .language_version:
      - 2
      - 0
    .max_flat_workgroup_size: 400
    .name:           fft_rtc_back_len125_factors_5_5_5_wgs_400_tpt_25_dp_ip_CI_sbcc_twdbase8_2step_dirReg
    .private_segment_fixed_size: 0
    .sgpr_count:     49
    .sgpr_spill_count: 0
    .symbol:         fft_rtc_back_len125_factors_5_5_5_wgs_400_tpt_25_dp_ip_CI_sbcc_twdbase8_2step_dirReg.kd
    .uniform_work_group_size: 1
    .uses_dynamic_stack: false
    .vgpr_count:     71
    .vgpr_spill_count: 0
    .wavefront_size: 64
amdhsa.target:   amdgcn-amd-amdhsa--gfx950
amdhsa.version:
  - 1
  - 2
...

	.end_amdgpu_metadata
